;; amdgpu-corpus repo=ROCm/rocFFT kind=compiled arch=gfx1030 opt=O3
	.text
	.amdgcn_target "amdgcn-amd-amdhsa--gfx1030"
	.amdhsa_code_object_version 6
	.protected	fft_rtc_back_len121_factors_11_11_wgs_121_tpt_11_dp_op_CI_CI_sbrc_aligned_dirReg ; -- Begin function fft_rtc_back_len121_factors_11_11_wgs_121_tpt_11_dp_op_CI_CI_sbrc_aligned_dirReg
	.globl	fft_rtc_back_len121_factors_11_11_wgs_121_tpt_11_dp_op_CI_CI_sbrc_aligned_dirReg
	.p2align	8
	.type	fft_rtc_back_len121_factors_11_11_wgs_121_tpt_11_dp_op_CI_CI_sbrc_aligned_dirReg,@function
fft_rtc_back_len121_factors_11_11_wgs_121_tpt_11_dp_op_CI_CI_sbrc_aligned_dirReg: ; @fft_rtc_back_len121_factors_11_11_wgs_121_tpt_11_dp_op_CI_CI_sbrc_aligned_dirReg
; %bb.0:
	s_clause 0x1
	s_load_dwordx8 s[8:15], s[4:5], 0x0
	s_load_dwordx2 s[24:25], s[4:5], 0x20
	s_mov_b32 s30, 0
	s_mov_b32 s28, 3
	s_mov_b64 s[34:35], 2
	s_mov_b32 s27, s30
	s_waitcnt lgkmcnt(0)
	s_load_dword s0, s[12:13], 0x8
	s_load_dwordx4 s[20:23], s[14:15], 0x0
	s_waitcnt lgkmcnt(0)
	s_add_i32 s0, s0, -1
	s_mul_hi_u32 s0, s0, 0xba2e8ba3
	s_lshr_b32 s0, s0, 3
	s_add_i32 s7, s0, 1
	v_cvt_f32_u32_e32 v1, s7
	s_sub_i32 s1, 0, s7
	v_rcp_iflag_f32_e32 v1, v1
	v_mul_f32_e32 v1, 0x4f7ffffe, v1
	v_cvt_u32_f32_e32 v1, v1
	v_readfirstlane_b32 s0, v1
	s_mul_i32 s1, s1, s0
	s_mul_hi_u32 s1, s0, s1
	s_add_i32 s16, s0, s1
	s_load_dwordx4 s[0:3], s[4:5], 0x58
	s_mul_hi_u32 s4, s6, s16
	s_load_dwordx4 s[16:19], s[24:25], 0x0
	s_mul_i32 s5, s4, s7
	s_waitcnt lgkmcnt(0)
	s_add_i32 s19, s4, 1
	s_sub_i32 s5, s6, s5
	s_sub_i32 s23, s5, s7
	s_cmp_ge_u32 s5, s7
	s_cselect_b32 s4, s19, s4
	s_cselect_b32 s5, s23, s5
	s_add_i32 s19, s4, 1
	s_cmp_ge_u32 s5, s7
	s_cselect_b32 s33, s19, s4
	v_cmp_gt_u64_e64 s4, s[10:11], 2
	s_mul_i32 s5, s33, s7
	s_sub_i32 s5, s6, s5
	s_mul_i32 s5, s5, 11
	s_and_b32 vcc_lo, exec_lo, s4
	s_mul_i32 s19, s17, s5
	s_mul_hi_u32 s23, s16, s5
	s_mul_i32 s26, s5, s22
	s_mul_i32 s4, s16, s5
	s_add_i32 s5, s23, s19
	s_cbranch_vccz .LBB0_8
.LBB0_1:                                ; =>This Inner Loop Header: Depth=1
	s_lshl_b64 s[36:37], s[34:35], 3
	s_add_u32 s34, s12, s36
	s_addc_u32 s35, s13, s37
	s_load_dwordx2 s[34:35], s[34:35], 0x0
	s_waitcnt lgkmcnt(0)
	s_mov_b32 s31, s35
	s_cmp_lg_u64 s[30:31], 0
	s_cbranch_scc0 .LBB0_6
; %bb.2:                                ;   in Loop: Header=BB0_1 Depth=1
	v_cvt_f32_u32_e32 v1, s34
	v_cvt_f32_u32_e32 v2, s35
	s_sub_u32 s29, 0, s34
	s_subb_u32 s31, 0, s35
	v_fmac_f32_e32 v1, 0x4f800000, v2
	v_rcp_f32_e32 v1, v1
	v_mul_f32_e32 v1, 0x5f7ffffc, v1
	v_mul_f32_e32 v2, 0x2f800000, v1
	v_trunc_f32_e32 v2, v2
	v_fmac_f32_e32 v1, 0xcf800000, v2
	v_cvt_u32_f32_e32 v2, v2
	v_cvt_u32_f32_e32 v1, v1
	v_readfirstlane_b32 s19, v2
	v_readfirstlane_b32 s23, v1
	s_mul_i32 s38, s29, s19
	s_mul_hi_u32 s40, s29, s23
	s_mul_i32 s39, s31, s23
	s_add_i32 s38, s40, s38
	s_mul_i32 s41, s29, s23
	s_add_i32 s38, s38, s39
	s_mul_hi_u32 s40, s23, s41
	s_mul_hi_u32 s42, s19, s41
	s_mul_i32 s39, s19, s41
	s_mul_hi_u32 s41, s23, s38
	s_mul_i32 s23, s23, s38
	s_mul_hi_u32 s43, s19, s38
	s_add_u32 s23, s40, s23
	s_addc_u32 s40, 0, s41
	s_add_u32 s23, s23, s39
	s_mul_i32 s38, s19, s38
	s_addc_u32 s23, s40, s42
	s_addc_u32 s39, s43, 0
	s_add_u32 s23, s23, s38
	s_addc_u32 s38, 0, s39
	v_add_co_u32 v1, s23, v1, s23
	s_cmp_lg_u32 s23, 0
	s_addc_u32 s19, s19, s38
	v_readfirstlane_b32 s23, v1
	s_mul_i32 s38, s29, s19
	s_mul_hi_u32 s39, s29, s23
	s_mul_i32 s31, s31, s23
	s_add_i32 s38, s39, s38
	s_mul_i32 s29, s29, s23
	s_add_i32 s38, s38, s31
	s_mul_hi_u32 s39, s19, s29
	s_mul_i32 s40, s19, s29
	s_mul_hi_u32 s29, s23, s29
	s_mul_hi_u32 s41, s23, s38
	s_mul_i32 s23, s23, s38
	s_mul_hi_u32 s31, s19, s38
	s_add_u32 s23, s29, s23
	s_addc_u32 s29, 0, s41
	s_add_u32 s23, s23, s40
	s_mul_i32 s38, s19, s38
	s_addc_u32 s23, s29, s39
	s_addc_u32 s29, s31, 0
	s_add_u32 s23, s23, s38
	s_addc_u32 s29, 0, s29
	v_add_co_u32 v1, s23, v1, s23
	s_cmp_lg_u32 s23, 0
	s_addc_u32 s19, s19, s29
	v_readfirstlane_b32 s23, v1
	s_mul_i32 s29, s33, s19
	s_mul_hi_u32 s19, s33, s19
	s_mul_hi_u32 s23, s33, s23
	s_add_u32 s23, s23, s29
	s_addc_u32 s23, 0, s19
	s_mul_i32 s19, s35, s23
	s_mul_hi_u32 s29, s34, s23
	s_mul_i32 s31, s34, s23
	s_add_i32 s29, s29, s19
	v_sub_co_u32 v1, s19, s33, s31
	s_sub_i32 s31, 0, s29
	s_cmp_lg_u32 s19, 0
	v_sub_co_u32 v2, s38, v1, s34
	s_subb_u32 s31, s31, s35
	s_cmp_lg_u32 s38, 0
	v_readfirstlane_b32 s38, v2
	s_subb_u32 s31, s31, 0
	s_cmp_ge_u32 s31, s35
	s_cselect_b32 s39, -1, 0
	s_cmp_ge_u32 s38, s34
	s_cselect_b32 s38, -1, 0
	s_cmp_eq_u32 s31, s35
	s_cselect_b32 s31, s38, s39
	s_add_u32 s38, s23, 1
	s_addc_u32 s39, 0, 0
	s_add_u32 s40, s23, 2
	s_addc_u32 s41, 0, 0
	s_cmp_lg_u32 s31, 0
	s_cselect_b32 s31, s40, s38
	s_cselect_b32 s38, s41, s39
	s_cmp_lg_u32 s19, 0
	v_readfirstlane_b32 s19, v1
	s_subb_u32 s29, 0, s29
	s_cmp_ge_u32 s29, s35
	s_cselect_b32 s39, -1, 0
	s_cmp_ge_u32 s19, s34
	s_cselect_b32 s19, -1, 0
	s_cmp_eq_u32 s29, s35
	s_cselect_b32 s19, s19, s39
	s_cmp_lg_u32 s19, 0
	s_cselect_b32 s39, s38, 0
	s_cselect_b32 s38, s31, s23
	s_cbranch_execnz .LBB0_4
.LBB0_3:                                ;   in Loop: Header=BB0_1 Depth=1
	v_cvt_f32_u32_e32 v1, s34
	s_sub_i32 s23, 0, s34
	s_mov_b32 s39, s30
	v_rcp_iflag_f32_e32 v1, v1
	v_mul_f32_e32 v1, 0x4f7ffffe, v1
	v_cvt_u32_f32_e32 v1, v1
	v_readfirstlane_b32 s19, v1
	s_mul_i32 s23, s23, s19
	s_mul_hi_u32 s23, s19, s23
	s_add_i32 s19, s19, s23
	s_mul_hi_u32 s19, s33, s19
	s_mul_i32 s23, s19, s34
	s_add_i32 s29, s19, 1
	s_sub_i32 s23, s33, s23
	s_sub_i32 s31, s23, s34
	s_cmp_ge_u32 s23, s34
	s_cselect_b32 s19, s29, s19
	s_cselect_b32 s23, s31, s23
	s_add_i32 s29, s19, 1
	s_cmp_ge_u32 s23, s34
	s_cselect_b32 s38, s29, s19
.LBB0_4:                                ;   in Loop: Header=BB0_1 Depth=1
	s_mul_i32 s19, s38, s35
	s_mul_hi_u32 s23, s38, s34
	s_mul_i32 s29, s38, s34
	s_add_i32 s19, s23, s19
	s_mul_i32 s23, s39, s34
	s_mul_i32 s7, s7, s34
	s_add_i32 s19, s19, s23
	s_sub_u32 s23, s33, s29
	s_subb_u32 s19, 0, s19
	s_add_u32 s40, s14, s36
	s_addc_u32 s41, s15, s37
	s_load_dwordx2 s[40:41], s[40:41], 0x0
	s_waitcnt lgkmcnt(0)
	s_mul_i32 s29, s40, s19
	s_mul_hi_u32 s31, s40, s23
	s_mul_i32 s33, s41, s23
	s_add_i32 s29, s31, s29
	s_mul_i32 s31, s40, s23
	s_add_i32 s29, s29, s33
	s_add_u32 s26, s31, s26
	s_addc_u32 s27, s29, s27
	s_add_u32 s36, s24, s36
	s_addc_u32 s37, s25, s37
	s_mov_b32 s29, s30
	s_load_dwordx2 s[36:37], s[36:37], 0x0
	s_mov_b64 s[34:35], s[28:29]
	v_cmp_ge_u64_e64 s29, s[28:29], s[10:11]
	s_waitcnt lgkmcnt(0)
	s_mul_i32 s19, s36, s19
	s_mul_hi_u32 s31, s36, s23
	s_mul_i32 s33, s37, s23
	s_add_i32 s19, s31, s19
	s_mul_i32 s23, s36, s23
	s_add_i32 s19, s19, s33
	s_add_u32 s4, s23, s4
	s_addc_u32 s5, s19, s5
	s_and_b32 vcc_lo, exec_lo, s29
	s_add_i32 s28, s28, 1
	s_cbranch_vccnz .LBB0_7
; %bb.5:                                ;   in Loop: Header=BB0_1 Depth=1
	s_mov_b32 s33, s38
	s_branch .LBB0_1
.LBB0_6:                                ;   in Loop: Header=BB0_1 Depth=1
                                        ; implicit-def: $sgpr38_sgpr39
	s_branch .LBB0_3
.LBB0_7:
	v_cvt_f32_u32_e32 v1, s7
	s_sub_i32 s13, 0, s7
	v_rcp_iflag_f32_e32 v1, v1
	v_mul_f32_e32 v1, 0x4f7ffffe, v1
	v_cvt_u32_f32_e32 v1, v1
	v_readfirstlane_b32 s12, v1
	s_mul_i32 s13, s13, s12
	s_mul_hi_u32 s13, s12, s13
	s_add_i32 s12, s12, s13
	s_mul_hi_u32 s12, s6, s12
	s_mul_i32 s13, s12, s7
	s_sub_i32 s6, s6, s13
	s_add_i32 s13, s12, 1
	s_sub_i32 s19, s6, s7
	s_cmp_ge_u32 s6, s7
	s_cselect_b32 s12, s13, s12
	s_cselect_b32 s6, s19, s6
	s_add_i32 s13, s12, 1
	s_cmp_ge_u32 s6, s7
	s_cselect_b32 s33, s13, s12
.LBB0_8:
	s_lshl_b64 s[6:7], s[10:11], 3
	v_mul_u32_u24_e32 v1, 0x21e, v0
	s_add_u32 s10, s14, s6
	s_addc_u32 s11, s15, s7
	v_mov_b32_e32 v45, 0
	s_load_dwordx2 s[10:11], s[10:11], 0x0
	v_lshrrev_b32_e32 v46, 16, v1
	v_mul_u32_u24_e32 v47, 0x1746, v0
	s_mov_b32 s28, 0x7f775887
	s_mov_b32 s29, 0xbfe4f49e
	s_mov_b32 s14, 0xfd768dbf
	v_mul_lo_u16 v1, 0x79, v46
	v_mul_lo_u32 v44, s22, v46
	v_lshrrev_b32_e32 v102, 16, v47
	v_lshlrev_b32_e32 v46, 4, v46
	s_mov_b32 s30, 0x9bcd5057
	v_sub_nc_u16 v3, v0, v1
	s_mov_b32 s15, 0xbfd207e7
	v_mul_lo_u16 v47, v102, 11
	v_mul_u32_u24_e32 v48, 0xb0, v102
	v_lshlrev_b64 v[1:2], 4, v[44:45]
	v_and_b32_e32 v101, 0xffff, v3
	v_add_nc_u32_e32 v44, s22, v44
	v_sub_nc_u16 v47, v0, v47
	s_mov_b32 s31, 0xbfeeb42a
	s_waitcnt lgkmcnt(0)
	s_mul_i32 s11, s11, s33
	s_mul_hi_u32 s12, s10, s33
	v_mad_u64_u32 v[3:4], null, s20, v101, 0
	s_add_i32 s11, s12, s11
	s_add_u32 s6, s24, s6
	s_addc_u32 s7, s25, s7
	v_lshlrev_b64 v[5:6], 4, v[44:45]
	s_load_dwordx2 s[24:25], s[6:7], 0x0
	v_add_nc_u32_e32 v44, s22, v44
	s_mul_i32 s10, s10, s33
	v_and_b32_e32 v103, 0xffff, v47
	s_lshl_b64 s[6:7], s[10:11], 4
	v_mad_u64_u32 v[9:10], null, s21, v101, v[4:5]
	v_lshlrev_b64 v[7:8], 4, v[44:45]
	v_add_nc_u32_e32 v44, s22, v44
	v_mul_u32_u24_e32 v47, 0xb0, v101
	v_lshlrev_b32_e32 v49, 4, v103
	s_mov_b32 s12, 0xbb3a28a1
	s_mov_b32 s20, 0xd9c712b6
	v_mov_b32_e32 v4, v9
	v_lshlrev_b64 v[10:11], 4, v[44:45]
	v_add_nc_u32_e32 v44, s22, v44
	v_add3_u32 v46, 0, v47, v46
	v_add3_u32 v100, 0, v48, v49
	v_lshlrev_b64 v[3:4], 4, v[3:4]
	s_mov_b32 s13, 0xbfe82f19
	s_waitcnt lgkmcnt(0)
	s_mul_i32 s10, s25, s33
	s_mul_hi_u32 s11, s24, s33
	v_lshlrev_b64 v[12:13], 4, v[44:45]
	s_add_i32 s19, s11, s10
	s_add_u32 s6, s0, s6
	s_addc_u32 s7, s1, s7
	s_lshl_b64 s[0:1], s[26:27], 4
	v_add_nc_u32_e32 v44, s22, v44
	s_add_u32 s0, s6, s0
	s_addc_u32 s1, s7, s1
	v_add_co_u32 v35, vcc_lo, s0, v3
	v_add_co_ci_u32_e32 v36, vcc_lo, s1, v4, vcc_lo
	v_lshlrev_b64 v[14:15], 4, v[44:45]
	v_add_co_u32 v1, vcc_lo, v35, v1
	v_add_co_ci_u32_e32 v2, vcc_lo, v36, v2, vcc_lo
	v_add_co_u32 v5, vcc_lo, v35, v5
	v_add_nc_u32_e32 v44, s22, v44
	v_add_co_ci_u32_e32 v6, vcc_lo, v36, v6, vcc_lo
	v_add_co_u32 v16, vcc_lo, v35, v7
	v_add_co_ci_u32_e32 v17, vcc_lo, v36, v8, vcc_lo
	v_lshlrev_b64 v[25:26], 4, v[44:45]
	v_add_nc_u32_e32 v44, s22, v44
	v_add_co_u32 v18, vcc_lo, v35, v10
	v_add_co_ci_u32_e32 v19, vcc_lo, v36, v11, vcc_lo
	v_add_co_u32 v20, vcc_lo, v35, v12
	v_lshlrev_b64 v[27:28], 4, v[44:45]
	v_add_nc_u32_e32 v44, s22, v44
	v_add_co_ci_u32_e32 v21, vcc_lo, v36, v13, vcc_lo
	v_add_co_u32 v22, vcc_lo, v35, v14
	v_add_co_ci_u32_e32 v23, vcc_lo, v36, v15, vcc_lo
	v_add_co_u32 v25, vcc_lo, v35, v25
	v_lshlrev_b64 v[29:30], 4, v[44:45]
	v_add_nc_u32_e32 v44, s22, v44
	v_add_co_ci_u32_e32 v26, vcc_lo, v36, v26, vcc_lo
	v_add_co_u32 v31, vcc_lo, v35, v27
	v_add_co_ci_u32_e32 v32, vcc_lo, v36, v28, vcc_lo
	v_lshlrev_b64 v[27:28], 4, v[44:45]
	v_add_nc_u32_e32 v44, s22, v44
	v_add_co_u32 v33, vcc_lo, v35, v29
	v_add_co_ci_u32_e32 v34, vcc_lo, v36, v30, vcc_lo
	v_lshlrev_b64 v[29:30], 4, v[44:45]
	v_add_co_u32 v37, vcc_lo, v35, v27
	v_add_co_ci_u32_e32 v38, vcc_lo, v36, v28, vcc_lo
	s_clause 0x1
	global_load_dwordx4 v[1:4], v[1:2], off
	global_load_dwordx4 v[5:8], v[5:6], off
	v_add_co_u32 v41, vcc_lo, v35, v29
	v_add_co_ci_u32_e32 v42, vcc_lo, v36, v30, vcc_lo
	s_clause 0x8
	global_load_dwordx4 v[9:12], v[16:17], off
	global_load_dwordx4 v[13:16], v[18:19], off
	;; [unrolled: 1-line block ×9, first 2 shown]
	s_mov_b32 s6, 0x8eee2c13
	s_mov_b32 s7, 0xbfed1bb4
	s_mov_b32 s0, 0xf8bb580b
	s_mov_b32 s10, 0x43842ef
	s_mov_b32 s22, 0x8764f0ba
	s_mov_b32 s26, 0x640f44db
	s_mov_b32 s1, 0xbfe14ced
	s_mov_b32 s11, 0xbfefac9e
	s_mov_b32 s23, 0x3feaeb8c
	s_mov_b32 s21, 0x3fda9628
	s_mov_b32 s27, 0xbfc2375f
	s_mov_b32 s39, 0x3fefac9e
	s_mov_b32 s41, 0x3fe82f19
	s_mov_b32 s43, 0x3fd207e7
	s_mov_b32 s38, s10
	s_mov_b32 s40, s12
	s_mov_b32 s42, s14
	s_mov_b32 s35, 0x3fe14ced
	s_mov_b32 s37, 0x3fed1bb4
	s_mov_b32 s34, s0
	s_mov_b32 s36, s6
	v_sub_nc_u32_e32 v0, v0, v101
	s_lshl_b64 s[4:5], s[4:5], 4
	s_waitcnt vmcnt(10)
	ds_write_b128 v46, v[1:4]
	s_waitcnt vmcnt(9)
	ds_write_b128 v46, v[5:8] offset:16
	s_waitcnt vmcnt(8)
	ds_write_b128 v46, v[9:12] offset:32
	;; [unrolled: 2-line block ×10, first 2 shown]
	s_waitcnt lgkmcnt(0)
	s_barrier
	buffer_gl0_inv
	ds_read_b128 v[64:67], v100
	ds_read_b128 v[17:20], v100 offset:1936
	ds_read_b128 v[1:4], v100 offset:19360
	;; [unrolled: 1-line block ×10, first 2 shown]
	s_waitcnt lgkmcnt(0)
	s_barrier
	buffer_gl0_inv
	s_add_u32 s4, s2, s4
	s_addc_u32 s5, s3, s5
	v_add_f64 v[37:38], v[64:65], v[17:18]
	v_add_f64 v[39:40], v[66:67], v[19:20]
	v_add_f64 v[41:42], v[19:20], -v[3:4]
	v_add_f64 v[19:20], v[19:20], v[3:4]
	v_add_f64 v[43:44], v[17:18], v[1:2]
	v_add_f64 v[50:51], v[31:32], -v[7:8]
	;; [unrolled: 3-line block ×3, first 2 shown]
	v_add_f64 v[17:18], v[17:18], -v[1:2]
	v_add_f64 v[54:55], v[35:36], -v[11:12]
	v_add_f64 v[56:57], v[35:36], v[11:12]
	v_add_f64 v[58:59], v[23:24], -v[98:99]
	v_add_f64 v[90:91], v[21:22], v[96:97]
	v_add_f64 v[46:47], v[23:24], v[98:99]
	;; [unrolled: 1-line block ×3, first 2 shown]
	v_add_f64 v[106:107], v[33:34], -v[9:10]
	v_add_f64 v[48:49], v[25:26], v[68:69]
	v_add_f64 v[15:16], v[27:28], v[70:71]
	v_add_f64 v[13:14], v[25:26], -v[68:69]
	v_add_f64 v[74:75], v[27:28], -v[70:71]
	;; [unrolled: 1-line block ×3, first 2 shown]
	v_add_f64 v[29:30], v[37:38], v[29:30]
	v_add_f64 v[31:32], v[39:40], v[31:32]
	v_mul_f64 v[37:38], v[41:42], s[0:1]
	v_mul_f64 v[80:81], v[19:20], s[28:29]
	;; [unrolled: 1-line block ×20, first 2 shown]
	v_add_f64 v[29:30], v[29:30], v[33:34]
	v_add_f64 v[31:32], v[31:32], v[35:36]
	v_mul_f64 v[112:113], v[46:47], s[28:29]
	v_fma_f64 v[186:187], v[17:18], s[40:41], v[80:81]
	v_fma_f64 v[188:189], v[17:18], s[12:13], v[80:81]
	;; [unrolled: 1-line block ×3, first 2 shown]
	v_fma_f64 v[198:199], v[108:109], s[20:21], -v[82:83]
	v_mul_f64 v[114:115], v[50:51], s[12:13]
	v_mul_f64 v[116:117], v[52:53], s[28:29]
	;; [unrolled: 1-line block ×15, first 2 shown]
	v_add_f64 v[29:30], v[29:30], v[21:22]
	v_add_f64 v[35:36], v[31:32], v[23:24]
	v_mul_f64 v[154:155], v[54:55], s[12:13]
	v_mul_f64 v[156:157], v[56:57], s[28:29]
	;; [unrolled: 1-line block ×4, first 2 shown]
	v_fma_f64 v[162:163], v[43:44], s[22:23], v[37:38]
	v_fma_f64 v[164:165], v[43:44], s[22:23], -v[37:38]
	v_fma_f64 v[166:167], v[43:44], s[20:21], v[39:40]
	v_fma_f64 v[168:169], v[43:44], s[20:21], -v[39:40]
	;; [unrolled: 2-line block ×5, first 2 shown]
	v_fma_f64 v[180:181], v[17:18], s[34:35], v[72:73]
	v_fma_f64 v[72:73], v[17:18], s[0:1], v[72:73]
	;; [unrolled: 1-line block ×6, first 2 shown]
	v_add_f64 v[80:81], v[29:30], v[25:26]
	v_add_f64 v[82:83], v[35:36], v[27:28]
	v_fma_f64 v[190:191], v[17:18], s[42:43], v[19:20]
	v_fma_f64 v[192:193], v[17:18], s[14:15], v[19:20]
	;; [unrolled: 1-line block ×5, first 2 shown]
	v_fma_f64 v[52:53], v[104:105], s[30:31], -v[118:119]
	v_fma_f64 v[37:38], v[106:107], s[42:43], v[120:121]
	v_fma_f64 v[27:28], v[90:91], s[26:27], -v[122:123]
	v_fma_f64 v[118:119], v[108:109], s[30:31], v[126:127]
	v_fma_f64 v[120:121], v[110:111], s[14:15], v[128:129]
	v_fma_f64 v[122:123], v[108:109], s[30:31], -v[126:127]
	v_fma_f64 v[62:63], v[110:111], s[42:43], v[128:129]
	v_fma_f64 v[196:197], v[110:111], s[36:37], v[84:85]
	;; [unrolled: 1-line block ×7, first 2 shown]
	v_fma_f64 v[39:40], v[104:105], s[26:27], -v[88:89]
	v_fma_f64 v[41:42], v[106:107], s[10:11], v[92:93]
	v_add_f64 v[126:127], v[80:81], v[68:69]
	v_add_f64 v[128:129], v[82:83], v[70:71]
	v_fma_f64 v[21:22], v[90:91], s[28:29], -v[94:95]
	v_fma_f64 v[23:24], v[86:87], s[12:13], v[112:113]
	v_fma_f64 v[112:113], v[108:109], s[28:29], v[114:115]
	;; [unrolled: 1-line block ×3, first 2 shown]
	v_fma_f64 v[114:115], v[108:109], s[28:29], -v[114:115]
	v_fma_f64 v[116:117], v[110:111], s[12:13], v[116:117]
	v_fma_f64 v[54:55], v[104:105], s[20:21], v[130:131]
	;; [unrolled: 1-line block ×4, first 2 shown]
	v_fma_f64 v[58:59], v[104:105], s[20:21], -v[130:131]
	v_fma_f64 v[50:51], v[106:107], s[36:37], v[132:133]
	v_fma_f64 v[35:36], v[90:91], s[22:23], -v[134:135]
	v_fma_f64 v[130:131], v[108:109], s[26:27], v[138:139]
	v_fma_f64 v[80:81], v[110:111], s[10:11], v[140:141]
	v_add_f64 v[132:133], v[64:65], v[162:163]
	v_add_f64 v[134:135], v[66:67], v[180:181]
	;; [unrolled: 1-line block ×20, first 2 shown]
	v_fma_f64 v[68:69], v[104:105], s[22:23], v[142:143]
	v_fma_f64 v[70:71], v[106:107], s[34:35], v[144:145]
	v_add_f64 v[64:65], v[126:127], v[96:97]
	v_add_f64 v[66:67], v[128:129], v[98:99]
	v_fma_f64 v[60:61], v[90:91], s[30:31], v[146:147]
	v_fma_f64 v[98:99], v[108:109], s[22:23], v[150:151]
	v_fma_f64 v[96:97], v[108:109], s[22:23], -v[150:151]
	v_fma_f64 v[108:109], v[108:109], s[26:27], -v[138:139]
	v_fma_f64 v[126:127], v[110:111], s[0:1], v[152:153]
	v_fma_f64 v[128:129], v[110:111], s[34:35], v[152:153]
	v_fma_f64 v[110:111], v[110:111], s[38:39], v[140:141]
	v_fma_f64 v[138:139], v[104:105], s[28:29], v[154:155]
	v_fma_f64 v[140:141], v[104:105], s[28:29], -v[154:155]
	v_fma_f64 v[104:105], v[104:105], s[22:23], -v[142:143]
	v_fma_f64 v[142:143], v[106:107], s[40:41], v[156:157]
	v_fma_f64 v[150:151], v[106:107], s[12:13], v[156:157]
	;; [unrolled: 6-line block ×3, first 2 shown]
	v_fma_f64 v[154:155], v[86:87], s[34:35], v[136:137]
	v_fma_f64 v[136:137], v[86:87], s[0:1], v[136:137]
	;; [unrolled: 1-line block ×6, first 2 shown]
	v_mul_f64 v[148:149], v[74:75], s[14:15]
	v_mul_f64 v[174:175], v[74:75], s[34:35]
	;; [unrolled: 1-line block ×5, first 2 shown]
	v_add_f64 v[112:113], v[112:113], v[166:167]
	v_add_f64 v[114:115], v[114:115], v[168:169]
	v_mul_f64 v[166:167], v[15:16], s[30:31]
	v_mul_f64 v[168:169], v[15:16], s[22:23]
	v_add_f64 v[80:81], v[80:81], v[92:93]
	v_mul_f64 v[92:93], v[15:16], s[28:29]
	v_add_f64 v[94:95], v[98:99], v[94:95]
	v_mul_f64 v[98:99], v[15:16], s[20:21]
	v_mul_f64 v[15:16], v[15:16], s[26:27]
	v_add_f64 v[118:119], v[118:119], v[170:171]
	v_add_f64 v[120:121], v[120:121], v[184:185]
	;; [unrolled: 1-line block ×8, first 2 shown]
	v_fma_f64 v[186:187], v[48:49], s[30:31], v[148:149]
	v_fma_f64 v[148:149], v[48:49], s[30:31], -v[148:149]
	v_fma_f64 v[188:189], v[48:49], s[22:23], v[174:175]
	v_fma_f64 v[174:175], v[48:49], s[22:23], -v[174:175]
	;; [unrolled: 2-line block ×5, first 2 shown]
	v_add_f64 v[74:75], v[194:195], v[132:133]
	v_add_f64 v[132:133], v[196:197], v[134:135]
	;; [unrolled: 1-line block ×8, first 2 shown]
	v_fma_f64 v[96:97], v[13:14], s[42:43], v[166:167]
	v_fma_f64 v[126:127], v[13:14], s[14:15], v[166:167]
	;; [unrolled: 1-line block ×10, first 2 shown]
	v_add_f64 v[78:79], v[104:105], v[78:79]
	v_add_f64 v[9:10], v[64:65], v[9:10]
	;; [unrolled: 1-line block ×3, first 2 shown]
	v_mul_lo_u16 v170, v102, 24
	v_add_f64 v[13:14], v[31:32], v[74:75]
	v_add_f64 v[15:16], v[33:34], v[132:133]
	;; [unrolled: 1-line block ×19, first 2 shown]
	v_lshrrev_b16 v170, 8, v170
	v_mov_b32_e32 v171, 10
	v_add_f64 v[13:14], v[17:18], v[13:14]
	v_add_f64 v[15:16], v[19:20], v[15:16]
	;; [unrolled: 1-line block ×24, first 2 shown]
	v_mul_lo_u16 v170, v170, 11
	v_add_f64 v[9:10], v[148:149], v[17:18]
	v_add_f64 v[13:14], v[188:189], v[21:22]
	;; [unrolled: 1-line block ×15, first 2 shown]
	v_sub_nc_u16 v170, v102, v170
	v_add_f64 v[27:28], v[92:93], v[50:51]
	v_add_f64 v[11:12], v[126:127], v[19:20]
	v_add_f64 v[19:20], v[166:167], v[56:57]
	v_add_f64 v[1:2], v[58:59], v[1:2]
	v_add_f64 v[3:4], v[60:61], v[3:4]
	v_mul_u32_u24_sdwa v46, v170, v171 dst_sel:DWORD dst_unused:UNUSED_PAD src0_sel:BYTE_0 src1_sel:DWORD
	v_mad_u32_u24 v47, 0x6e0, v102, v100
	ds_write_b128 v47, v[5:8] offset:176
	ds_write_b128 v47, v[13:16] offset:352
	;; [unrolled: 1-line block ×10, first 2 shown]
	ds_write_b128 v47, v[1:4]
	v_lshlrev_b32_e32 v46, 4, v46
	s_waitcnt lgkmcnt(0)
	s_barrier
	buffer_gl0_inv
	s_clause 0x9
	global_load_dwordx4 v[1:4], v46, s[8:9]
	global_load_dwordx4 v[29:32], v46, s[8:9] offset:144
	global_load_dwordx4 v[37:40], v46, s[8:9] offset:16
	;; [unrolled: 1-line block ×9, first 2 shown]
	v_mad_u64_u32 v[41:42], null, s16, v103, 0
	v_add_nc_u32_sdwa v0, v0, v170 dst_sel:DWORD dst_unused:UNUSED_PAD src0_sel:DWORD src1_sel:BYTE_0
	s_mul_i32 s8, s18, 11
	ds_read_b128 v[54:57], v100 offset:1936
	ds_read_b128 v[58:61], v100 offset:19360
	;; [unrolled: 1-line block ×3, first 2 shown]
	v_mul_lo_u32 v44, v0, s18
	v_mad_u64_u32 v[42:43], null, s17, v103, v[42:43]
	s_mul_i32 s18, s24, s33
	s_lshl_b64 s[2:3], s[18:19], 4
	s_add_u32 s2, s2, s4
	v_lshlrev_b64 v[46:47], 4, v[44:45]
	v_add_nc_u32_e32 v44, s8, v44
	v_lshlrev_b64 v[41:42], 4, v[41:42]
	s_addc_u32 s3, s3, s5
	v_lshlrev_b64 v[48:49], 4, v[44:45]
	v_add_nc_u32_e32 v44, s8, v44
	v_add_co_u32 v0, vcc_lo, s2, v41
	v_add_co_ci_u32_e32 v43, vcc_lo, s3, v42, vcc_lo
	v_lshlrev_b64 v[50:51], 4, v[44:45]
	v_add_nc_u32_e32 v44, s8, v44
	v_add_co_u32 v41, vcc_lo, v0, v46
	v_add_co_ci_u32_e32 v42, vcc_lo, v43, v47, vcc_lo
	;; [unrolled: 4-line block ×3, first 2 shown]
	v_add_co_u32 v48, vcc_lo, v0, v50
	v_lshlrev_b64 v[66:67], 4, v[44:45]
	v_add_co_ci_u32_e32 v49, vcc_lo, v43, v51, vcc_lo
	v_add_co_u32 v50, vcc_lo, v0, v52
	v_add_co_ci_u32_e32 v51, vcc_lo, v43, v53, vcc_lo
	v_add_co_u32 v52, vcc_lo, v0, v66
	v_add_co_ci_u32_e32 v53, vcc_lo, v43, v67, vcc_lo
	ds_read_b128 v[66:69], v100 offset:5808
	ds_read_b128 v[70:73], v100 offset:7744
	ds_read_b128 v[74:77], v100 offset:15488
	ds_read_b128 v[78:81], v100 offset:17424
	ds_read_b128 v[82:85], v100 offset:11616
	ds_read_b128 v[86:89], v100 offset:13552
	v_add_nc_u32_e32 v44, s8, v44
	ds_read_b128 v[90:93], v100
	v_lshlrev_b64 v[94:95], 4, v[44:45]
	v_add_nc_u32_e32 v44, s8, v44
	v_add_co_u32 v105, vcc_lo, v0, v94
	v_add_co_ci_u32_e32 v106, vcc_lo, v43, v95, vcc_lo
	ds_read_b128 v[94:97], v100 offset:9680
	v_lshlrev_b64 v[98:99], 4, v[44:45]
	v_add_nc_u32_e32 v44, s8, v44
	v_lshlrev_b64 v[107:108], 4, v[44:45]
	v_add_nc_u32_e32 v44, s8, v44
	s_waitcnt vmcnt(9) lgkmcnt(10)
	v_mul_f64 v[101:102], v[56:57], v[3:4]
	v_mul_f64 v[3:4], v[54:55], v[3:4]
	s_waitcnt vmcnt(8) lgkmcnt(9)
	v_mul_f64 v[103:104], v[58:59], v[31:32]
	s_waitcnt vmcnt(7) lgkmcnt(8)
	v_mul_f64 v[109:110], v[64:65], v[39:40]
	v_mul_f64 v[39:40], v[62:63], v[39:40]
	s_waitcnt vmcnt(6) lgkmcnt(7)
	v_mul_f64 v[111:112], v[68:69], v[35:36]
	;; [unrolled: 3-line block ×3, first 2 shown]
	v_mul_f64 v[31:32], v[60:61], v[31:32]
	v_mul_f64 v[27:28], v[70:71], v[27:28]
	s_waitcnt vmcnt(4) lgkmcnt(4)
	v_mul_f64 v[115:116], v[78:79], v[23:24]
	s_waitcnt vmcnt(3) lgkmcnt(2)
	v_mul_f64 v[117:118], v[88:89], v[19:20]
	s_waitcnt vmcnt(2)
	v_mul_f64 v[119:120], v[74:75], v[15:16]
	v_mul_f64 v[19:20], v[86:87], v[19:20]
	;; [unrolled: 1-line block ×4, first 2 shown]
	v_fma_f64 v[54:55], v[54:55], v[1:2], v[101:102]
	v_fma_f64 v[1:2], v[56:57], v[1:2], -v[3:4]
	v_fma_f64 v[56:57], v[60:61], v[29:30], -v[103:104]
	v_add_co_u32 v60, vcc_lo, v0, v98
	v_add_co_ci_u32_e32 v61, vcc_lo, v43, v99, vcc_lo
	s_waitcnt vmcnt(1) lgkmcnt(0)
	v_mul_f64 v[3:4], v[96:97], v[11:12]
	v_mul_f64 v[11:12], v[94:95], v[11:12]
	s_waitcnt vmcnt(0)
	v_mul_f64 v[98:99], v[84:85], v[7:8]
	v_mul_f64 v[7:8], v[82:83], v[7:8]
	v_fma_f64 v[62:63], v[62:63], v[37:38], v[109:110]
	v_fma_f64 v[37:38], v[64:65], v[37:38], -v[39:40]
	v_fma_f64 v[39:40], v[66:67], v[33:34], v[111:112]
	v_fma_f64 v[29:30], v[58:59], v[29:30], v[31:32]
	v_fma_f64 v[31:32], v[68:69], v[33:34], -v[35:36]
	v_fma_f64 v[33:34], v[80:81], v[21:22], -v[115:116]
	v_fma_f64 v[35:36], v[70:71], v[25:26], v[113:114]
	v_fma_f64 v[58:59], v[76:77], v[13:14], -v[119:120]
	v_fma_f64 v[25:26], v[72:73], v[25:26], -v[27:28]
	;; [unrolled: 1-line block ×3, first 2 shown]
	v_fma_f64 v[21:22], v[78:79], v[21:22], v[23:24]
	v_fma_f64 v[13:14], v[74:75], v[13:14], v[15:16]
	v_add_f64 v[15:16], v[90:91], v[54:55]
	v_add_f64 v[23:24], v[92:93], v[1:2]
	v_add_f64 v[27:28], v[1:2], -v[56:57]
	v_add_f64 v[1:2], v[1:2], v[56:57]
	v_fma_f64 v[17:18], v[86:87], v[17:18], v[117:118]
	v_add_co_u32 v64, vcc_lo, v0, v107
	v_fma_f64 v[3:4], v[94:95], v[9:10], v[3:4]
	v_fma_f64 v[9:10], v[96:97], v[9:10], -v[11:12]
	v_fma_f64 v[11:12], v[82:83], v[5:6], v[98:99]
	v_fma_f64 v[5:6], v[84:85], v[5:6], -v[7:8]
	v_add_co_ci_u32_e32 v65, vcc_lo, v43, v108, vcc_lo
	v_add_f64 v[7:8], v[54:55], v[29:30]
	v_add_f64 v[54:55], v[54:55], -v[29:30]
	v_add_f64 v[66:67], v[37:38], -v[33:34]
	v_add_f64 v[68:69], v[37:38], v[33:34]
	v_add_f64 v[70:71], v[31:32], -v[58:59]
	v_add_f64 v[72:73], v[31:32], v[58:59]
	;; [unrolled: 2-line block ×4, first 2 shown]
	v_add_f64 v[23:24], v[23:24], v[37:38]
	v_mul_f64 v[37:38], v[27:28], s[0:1]
	v_mul_f64 v[62:63], v[27:28], s[6:7]
	;; [unrolled: 1-line block ×10, first 2 shown]
	v_add_f64 v[80:81], v[39:40], v[13:14]
	v_add_f64 v[82:83], v[39:40], -v[13:14]
	v_add_f64 v[84:85], v[35:36], v[17:18]
	v_mul_f64 v[102:103], v[66:67], s[6:7]
	v_mul_f64 v[107:108], v[68:69], s[20:21]
	;; [unrolled: 1-line block ×25, first 2 shown]
	v_add_f64 v[15:16], v[15:16], v[39:40]
	v_add_f64 v[23:24], v[23:24], v[31:32]
	v_fma_f64 v[31:32], v[7:8], s[22:23], v[37:38]
	v_fma_f64 v[37:38], v[7:8], s[22:23], -v[37:38]
	v_fma_f64 v[39:40], v[7:8], s[20:21], v[62:63]
	v_fma_f64 v[62:63], v[7:8], s[20:21], -v[62:63]
	;; [unrolled: 2-line block ×5, first 2 shown]
	v_fma_f64 v[27:28], v[54:55], s[34:35], v[94:95]
	v_fma_f64 v[94:95], v[54:55], s[0:1], v[94:95]
	;; [unrolled: 1-line block ×15, first 2 shown]
	v_fma_f64 v[102:103], v[76:77], s[20:21], -v[102:103]
	v_fma_f64 v[107:108], v[78:79], s[6:7], v[107:108]
	v_fma_f64 v[109:110], v[80:81], s[26:27], -v[109:110]
	v_fma_f64 v[111:112], v[82:83], s[10:11], v[111:112]
	;; [unrolled: 2-line block ×3, first 2 shown]
	v_fma_f64 v[169:170], v[78:79], s[40:41], v[117:118]
	v_fma_f64 v[171:172], v[80:81], s[30:31], v[119:120]
	;; [unrolled: 1-line block ×3, first 2 shown]
	v_fma_f64 v[115:116], v[76:77], s[28:29], -v[115:116]
	v_fma_f64 v[117:118], v[78:79], s[12:13], v[117:118]
	v_fma_f64 v[119:120], v[80:81], s[30:31], -v[119:120]
	v_fma_f64 v[121:122], v[82:83], s[42:43], v[121:122]
	v_fma_f64 v[175:176], v[76:77], s[30:31], v[125:126]
	;; [unrolled: 1-line block ×5, first 2 shown]
	v_fma_f64 v[125:126], v[76:77], s[30:31], -v[125:126]
	v_fma_f64 v[127:128], v[78:79], s[42:43], v[127:128]
	v_fma_f64 v[129:130], v[80:81], s[20:21], -v[129:130]
	v_fma_f64 v[131:132], v[82:83], s[36:37], v[131:132]
	v_fma_f64 v[183:184], v[76:77], s[26:27], v[135:136]
	;; [unrolled: 1-line block ×4, first 2 shown]
	v_add_f64 v[31:32], v[90:91], v[31:32]
	v_add_f64 v[27:28], v[92:93], v[27:28]
	;; [unrolled: 1-line block ×20, first 2 shown]
	v_fma_f64 v[90:91], v[82:83], s[34:35], v[141:142]
	v_fma_f64 v[92:93], v[76:77], s[26:27], -v[135:136]
	v_fma_f64 v[135:136], v[78:79], s[38:39], v[137:138]
	v_fma_f64 v[137:138], v[80:81], s[22:23], -v[139:140]
	v_fma_f64 v[139:140], v[82:83], s[0:1], v[141:142]
	v_fma_f64 v[141:142], v[76:77], s[22:23], v[66:67]
	v_fma_f64 v[66:67], v[76:77], s[22:23], -v[66:67]
	v_fma_f64 v[76:77], v[78:79], s[0:1], v[68:69]
	v_fma_f64 v[68:69], v[78:79], s[34:35], v[68:69]
	v_fma_f64 v[78:79], v[80:81], s[28:29], v[70:71]
	v_fma_f64 v[70:71], v[80:81], s[28:29], -v[70:71]
	v_fma_f64 v[80:81], v[82:83], s[40:41], v[72:73]
	;; [unrolled: 4-line block ×3, first 2 shown]
	v_fma_f64 v[133:134], v[84:85], s[22:23], -v[133:134]
	v_fma_f64 v[191:192], v[84:85], s[30:31], v[143:144]
	v_fma_f64 v[143:144], v[84:85], s[30:31], -v[143:144]
	v_fma_f64 v[193:194], v[84:85], s[20:21], v[74:75]
	v_fma_f64 v[74:75], v[84:85], s[20:21], -v[74:75]
	v_add_f64 v[84:85], v[25:26], v[19:20]
	v_add_f64 v[203:204], v[35:36], -v[17:18]
	v_add_f64 v[23:24], v[23:24], v[25:26]
	v_add_f64 v[25:26], v[9:10], -v[5:6]
	v_add_f64 v[15:16], v[15:16], v[35:36]
	v_add_f64 v[221:222], v[3:4], v[11:12]
	v_add_f64 v[88:89], v[92:93], v[88:89]
	v_add_f64 v[92:93], v[135:136], v[100:101]
	v_add_f64 v[100:101], v[141:142], v[149:150]
	v_add_f64 v[76:77], v[76:77], v[157:158]
	v_add_f64 v[86:87], v[125:126], v[86:87]
	v_add_f64 v[7:8], v[66:67], v[7:8]
	v_add_f64 v[1:2], v[68:69], v[1:2]
	v_lshlrev_b64 v[66:67], 4, v[44:45]
	v_add_nc_u32_e32 v44, s8, v44
	v_lshlrev_b64 v[68:69], 4, v[44:45]
	v_add_nc_u32_e32 v44, s8, v44
	v_mul_f64 v[195:196], v[84:85], s[28:29]
	v_mul_f64 v[197:198], v[84:85], s[26:27]
	;; [unrolled: 1-line block ×8, first 2 shown]
	v_add_f64 v[23:24], v[23:24], v[9:10]
	v_add_f64 v[9:10], v[9:10], v[5:6]
	;; [unrolled: 1-line block ×3, first 2 shown]
	v_add_f64 v[3:4], v[3:4], -v[11:12]
	v_add_f64 v[78:79], v[78:79], v[100:101]
	v_add_f64 v[76:77], v[80:81], v[76:77]
	;; [unrolled: 1-line block ×5, first 2 shown]
	v_lshlrev_b64 v[44:45], 4, v[44:45]
	v_fma_f64 v[205:206], v[203:204], s[40:41], v[195:196]
	v_fma_f64 v[195:196], v[203:204], s[12:13], v[195:196]
	;; [unrolled: 1-line block ×10, first 2 shown]
	v_mul_f64 v[203:204], v[25:26], s[14:15]
	v_mul_f64 v[25:26], v[25:26], s[10:11]
	v_fma_f64 v[225:226], v[221:222], s[22:23], v[215:216]
	v_fma_f64 v[215:216], v[221:222], s[22:23], -v[215:216]
	v_fma_f64 v[227:228], v[221:222], s[28:29], v[217:218]
	v_fma_f64 v[217:218], v[221:222], s[28:29], -v[217:218]
	;; [unrolled: 2-line block ×3, first 2 shown]
	v_mul_f64 v[35:36], v[9:10], s[22:23]
	v_mul_f64 v[233:234], v[9:10], s[28:29]
	;; [unrolled: 1-line block ×3, first 2 shown]
	v_add_f64 v[11:12], v[15:16], v[11:12]
	v_add_f64 v[5:6], v[23:24], v[5:6]
	;; [unrolled: 1-line block ×11, first 2 shown]
	v_fma_f64 v[223:224], v[221:222], s[30:31], v[203:204]
	v_fma_f64 v[203:204], v[221:222], s[30:31], -v[203:204]
	v_fma_f64 v[231:232], v[221:222], s[26:27], v[25:26]
	v_fma_f64 v[221:222], v[221:222], s[26:27], -v[25:26]
	v_mul_f64 v[25:26], v[9:10], s[30:31]
	v_mul_f64 v[9:10], v[9:10], s[26:27]
	v_add_f64 v[84:85], v[84:85], v[1:2]
	v_add_f64 v[70:71], v[201:202], v[70:71]
	v_fma_f64 v[239:240], v[3:4], s[0:1], v[35:36]
	v_fma_f64 v[35:36], v[3:4], s[34:35], v[35:36]
	;; [unrolled: 1-line block ×6, first 2 shown]
	v_add_f64 v[11:12], v[11:12], v[17:18]
	v_add_f64 v[5:6], v[5:6], v[19:20]
	;; [unrolled: 1-line block ×5, first 2 shown]
	v_fma_f64 v[237:238], v[3:4], s[42:43], v[25:26]
	v_fma_f64 v[25:26], v[3:4], s[14:15], v[25:26]
	;; [unrolled: 1-line block ×4, first 2 shown]
	v_add_f64 v[3:4], v[54:55], v[31:32]
	v_add_f64 v[31:32], v[169:170], v[151:152]
	;; [unrolled: 1-line block ×60, first 2 shown]
	v_add_co_u32 v58, vcc_lo, v0, v66
	v_add_co_ci_u32_e32 v59, vcc_lo, v43, v67, vcc_lo
	v_add_co_u32 v62, vcc_lo, v0, v68
	v_add_co_ci_u32_e32 v63, vcc_lo, v43, v69, vcc_lo
	;; [unrolled: 2-line block ×3, first 2 shown]
	global_store_dwordx4 v[41:42], v[29:32], off
	global_store_dwordx4 v[46:47], v[1:4], off
	;; [unrolled: 1-line block ×11, first 2 shown]
	s_endpgm
	.section	.rodata,"a",@progbits
	.p2align	6, 0x0
	.amdhsa_kernel fft_rtc_back_len121_factors_11_11_wgs_121_tpt_11_dp_op_CI_CI_sbrc_aligned_dirReg
		.amdhsa_group_segment_fixed_size 0
		.amdhsa_private_segment_fixed_size 0
		.amdhsa_kernarg_size 104
		.amdhsa_user_sgpr_count 6
		.amdhsa_user_sgpr_private_segment_buffer 1
		.amdhsa_user_sgpr_dispatch_ptr 0
		.amdhsa_user_sgpr_queue_ptr 0
		.amdhsa_user_sgpr_kernarg_segment_ptr 1
		.amdhsa_user_sgpr_dispatch_id 0
		.amdhsa_user_sgpr_flat_scratch_init 0
		.amdhsa_user_sgpr_private_segment_size 0
		.amdhsa_wavefront_size32 1
		.amdhsa_uses_dynamic_stack 0
		.amdhsa_system_sgpr_private_segment_wavefront_offset 0
		.amdhsa_system_sgpr_workgroup_id_x 1
		.amdhsa_system_sgpr_workgroup_id_y 0
		.amdhsa_system_sgpr_workgroup_id_z 0
		.amdhsa_system_sgpr_workgroup_info 0
		.amdhsa_system_vgpr_workitem_id 0
		.amdhsa_next_free_vgpr 249
		.amdhsa_next_free_sgpr 44
		.amdhsa_reserve_vcc 1
		.amdhsa_reserve_flat_scratch 0
		.amdhsa_float_round_mode_32 0
		.amdhsa_float_round_mode_16_64 0
		.amdhsa_float_denorm_mode_32 3
		.amdhsa_float_denorm_mode_16_64 3
		.amdhsa_dx10_clamp 1
		.amdhsa_ieee_mode 1
		.amdhsa_fp16_overflow 0
		.amdhsa_workgroup_processor_mode 1
		.amdhsa_memory_ordered 1
		.amdhsa_forward_progress 0
		.amdhsa_shared_vgpr_count 0
		.amdhsa_exception_fp_ieee_invalid_op 0
		.amdhsa_exception_fp_denorm_src 0
		.amdhsa_exception_fp_ieee_div_zero 0
		.amdhsa_exception_fp_ieee_overflow 0
		.amdhsa_exception_fp_ieee_underflow 0
		.amdhsa_exception_fp_ieee_inexact 0
		.amdhsa_exception_int_div_zero 0
	.end_amdhsa_kernel
	.text
.Lfunc_end0:
	.size	fft_rtc_back_len121_factors_11_11_wgs_121_tpt_11_dp_op_CI_CI_sbrc_aligned_dirReg, .Lfunc_end0-fft_rtc_back_len121_factors_11_11_wgs_121_tpt_11_dp_op_CI_CI_sbrc_aligned_dirReg
                                        ; -- End function
	.section	.AMDGPU.csdata,"",@progbits
; Kernel info:
; codeLenInByte = 7940
; NumSgprs: 46
; NumVgprs: 249
; ScratchSize: 0
; MemoryBound: 0
; FloatMode: 240
; IeeeMode: 1
; LDSByteSize: 0 bytes/workgroup (compile time only)
; SGPRBlocks: 5
; VGPRBlocks: 31
; NumSGPRsForWavesPerEU: 46
; NumVGPRsForWavesPerEU: 249
; Occupancy: 4
; WaveLimiterHint : 1
; COMPUTE_PGM_RSRC2:SCRATCH_EN: 0
; COMPUTE_PGM_RSRC2:USER_SGPR: 6
; COMPUTE_PGM_RSRC2:TRAP_HANDLER: 0
; COMPUTE_PGM_RSRC2:TGID_X_EN: 1
; COMPUTE_PGM_RSRC2:TGID_Y_EN: 0
; COMPUTE_PGM_RSRC2:TGID_Z_EN: 0
; COMPUTE_PGM_RSRC2:TIDIG_COMP_CNT: 0
	.text
	.p2alignl 6, 3214868480
	.fill 48, 4, 3214868480
	.type	__hip_cuid_4c6b350aaaf6caa8,@object ; @__hip_cuid_4c6b350aaaf6caa8
	.section	.bss,"aw",@nobits
	.globl	__hip_cuid_4c6b350aaaf6caa8
__hip_cuid_4c6b350aaaf6caa8:
	.byte	0                               ; 0x0
	.size	__hip_cuid_4c6b350aaaf6caa8, 1

	.ident	"AMD clang version 19.0.0git (https://github.com/RadeonOpenCompute/llvm-project roc-6.4.0 25133 c7fe45cf4b819c5991fe208aaa96edf142730f1d)"
	.section	".note.GNU-stack","",@progbits
	.addrsig
	.addrsig_sym __hip_cuid_4c6b350aaaf6caa8
	.amdgpu_metadata
---
amdhsa.kernels:
  - .args:
      - .actual_access:  read_only
        .address_space:  global
        .offset:         0
        .size:           8
        .value_kind:     global_buffer
      - .offset:         8
        .size:           8
        .value_kind:     by_value
      - .actual_access:  read_only
        .address_space:  global
        .offset:         16
        .size:           8
        .value_kind:     global_buffer
      - .actual_access:  read_only
        .address_space:  global
        .offset:         24
        .size:           8
        .value_kind:     global_buffer
      - .actual_access:  read_only
        .address_space:  global
        .offset:         32
        .size:           8
        .value_kind:     global_buffer
      - .offset:         40
        .size:           8
        .value_kind:     by_value
      - .actual_access:  read_only
        .address_space:  global
        .offset:         48
        .size:           8
        .value_kind:     global_buffer
      - .actual_access:  read_only
        .address_space:  global
        .offset:         56
        .size:           8
        .value_kind:     global_buffer
      - .offset:         64
        .size:           4
        .value_kind:     by_value
      - .actual_access:  read_only
        .address_space:  global
        .offset:         72
        .size:           8
        .value_kind:     global_buffer
      - .actual_access:  read_only
        .address_space:  global
        .offset:         80
        .size:           8
        .value_kind:     global_buffer
      - .actual_access:  read_only
        .address_space:  global
        .offset:         88
        .size:           8
        .value_kind:     global_buffer
      - .actual_access:  write_only
        .address_space:  global
        .offset:         96
        .size:           8
        .value_kind:     global_buffer
    .group_segment_fixed_size: 0
    .kernarg_segment_align: 8
    .kernarg_segment_size: 104
    .language:       OpenCL C
    .language_version:
      - 2
      - 0
    .max_flat_workgroup_size: 121
    .name:           fft_rtc_back_len121_factors_11_11_wgs_121_tpt_11_dp_op_CI_CI_sbrc_aligned_dirReg
    .private_segment_fixed_size: 0
    .sgpr_count:     46
    .sgpr_spill_count: 0
    .symbol:         fft_rtc_back_len121_factors_11_11_wgs_121_tpt_11_dp_op_CI_CI_sbrc_aligned_dirReg.kd
    .uniform_work_group_size: 1
    .uses_dynamic_stack: false
    .vgpr_count:     249
    .vgpr_spill_count: 0
    .wavefront_size: 32
    .workgroup_processor_mode: 1
amdhsa.target:   amdgcn-amd-amdhsa--gfx1030
amdhsa.version:
  - 1
  - 2
...

	.end_amdgpu_metadata
